;; amdgpu-corpus repo=triton-lang/triton kind=triton arch=gfx1201 opt=O3 lang=triton
	.amdgcn_target "amdgcn-amd-amdhsa--gfx1201"
	.amdhsa_code_object_version 5
	.text
	.globl	row_sum_kernel                  ; -- Begin function row_sum_kernel
	.p2align	8
	.type	row_sum_kernel,@function
row_sum_kernel:                         ; @row_sum_kernel
.Lfunc_begin0:
	.file	1 "/root/src/amdgpu-assembly/repos/triton-lang__triton-aot" "row_sum.py"
	.loc	1 7 0                           ; row_sum.py:7:0
	.cfi_sections .debug_frame
	.cfi_startproc
; %bb.0:
	s_load_b32 s3, s[0:1], 0x14
.Ltmp0:
	.loc	1 13 34 prologue_end            ; row_sum.py:13:34
	v_and_b32_e32 v5, 31, v0
	.loc	1 17 28                         ; row_sum.py:17:28
	s_bfe_u32 s6, ttmp8, 0x50019
	.loc	1 12 32                         ; row_sum.py:12:32
	s_wait_kmcnt 0x0
	s_cmp_lt_i32 s3, 1
	s_cbranch_scc1 .LBB0_20
; %bb.1:                                ; %.lr.ph.preheader
	.loc	1 0 32 is_stmt 0                ; row_sum.py:0:32
	s_clause 0x1
	s_load_b32 s2, s[0:1], 0x18
	s_load_b64 s[4:5], s[0:1], 0x0
	.loc	1 13 34 is_stmt 1               ; row_sum.py:13:34
	s_lshl_b32 s7, s6, 5
	v_dual_mov_b32 v6, 0 :: v_dual_mov_b32 v7, 0
	v_dual_mov_b32 v8, 0 :: v_dual_mov_b32 v9, 0
	;; [unrolled: 1-line block ×4, first 2 shown]
	.loc	1 14 20                         ; row_sum.py:14:20
	v_and_or_b32 v14, 0xe0, s7, v5
	s_mov_b32 s7, 0
	.loc	1 10 19                         ; row_sum.py:10:19
	s_wait_kmcnt 0x0
	s_mul_i32 s8, s2, ttmp9
	s_delay_alu instid0(SALU_CYCLE_1) | instskip(NEXT) | instid1(SALU_CYCLE_1)
	.loc	1 10 13 is_stmt 0               ; row_sum.py:10:13
	s_ashr_i32 s9, s8, 31
	s_lshl_b64 s[8:9], s[8:9], 1
	s_delay_alu instid0(SALU_CYCLE_1)
	s_add_nc_u64 s[4:5], s[4:5], s[8:9]
	s_branch .LBB0_3
.LBB0_2:                                ;   in Loop: Header=BB0_3 Depth=1
	.loc	1 0 13                          ; row_sum.py:0:13
	s_wait_alu depctr_sa_sdst(0)
	s_or_b32 exec_lo, exec_lo, s2
	.loc	1 14 68 is_stmt 1               ; row_sum.py:14:68
	s_wait_loadcnt 0x0
	v_cvt_f32_f16_e32 v1, v4
	v_cvt_f32_f16_e32 v2, v16
	;; [unrolled: 1-line block ×8, first 2 shown]
	.loc	1 15 15                         ; row_sum.py:15:15
	v_dual_add_f32 v6, v6, v1 :: v_dual_add_f32 v7, v7, v2
	v_dual_add_f32 v8, v8, v4 :: v_dual_add_f32 v9, v9, v15
	;; [unrolled: 1-line block ×3, first 2 shown]
	s_delay_alu instid0(VALU_DEP_4)
	v_dual_add_f32 v12, v12, v18 :: v_dual_add_f32 v13, v13, v3
	.loc	1 12 32                         ; row_sum.py:12:32
	s_addk_co_i32 s7, 0x800
	s_wait_alu depctr_sa_sdst(0)
	s_cmp_lt_i32 s7, s3
	s_cbranch_scc0 .LBB0_19
.LBB0_3:                                ; %.lr.ph
                                        ; =>This Inner Loop Header: Depth=1
	.loc	1 13 21                         ; row_sum.py:13:21
	s_wait_alu depctr_sa_sdst(0)
	v_add_nc_u32_e32 v3, s7, v14
	s_delay_alu instid0(VALU_DEP_1) | instskip(NEXT) | instid1(VALU_DEP_1)
	.loc	1 14 28                         ; row_sum.py:14:28
	v_ashrrev_i32_e32 v4, 31, v3
	v_lshlrev_b64_e32 v[1:2], 1, v[3:4]
	v_mov_b32_e32 v4, 0
	s_delay_alu instid0(VALU_DEP_2) | instskip(SKIP_1) | instid1(VALU_DEP_3)
	v_add_co_u32 v1, s2, s4, v1
	s_wait_alu depctr_va_sdst(0)
	v_add_co_ci_u32_e64 v2, null, s5, v2, s2
	.loc	1 14 20 is_stmt 0               ; row_sum.py:14:20
	s_mov_b32 s2, exec_lo
	.loc	1 14 46                         ; row_sum.py:14:46
	v_cmpx_gt_i32_e64 s3, v3
	.loc	1 14 20                         ; row_sum.py:14:20
	s_cbranch_execz .LBB0_5
; %bb.4:                                ;   in Loop: Header=BB0_3 Depth=1
	global_load_u16 v4, v[1:2], off
.LBB0_5:                                ;   in Loop: Header=BB0_3 Depth=1
	.loc	1 0 20                          ; row_sum.py:0:20
	s_wait_alu depctr_sa_sdst(0)
	s_or_b32 exec_lo, exec_lo, s2
	v_dual_mov_b32 v15, 0 :: v_dual_add_nc_u32 v16, 0x100, v3
	s_delay_alu instid0(VALU_DEP_1)
	.loc	1 14 46                         ; row_sum.py:14:46
	v_cmp_gt_i32_e32 vcc_lo, s3, v16
	v_mov_b32_e32 v16, 0
	.loc	1 14 20                         ; row_sum.py:14:20
	s_and_saveexec_b32 s2, vcc_lo
	s_cbranch_execz .LBB0_7
; %bb.6:                                ;   in Loop: Header=BB0_3 Depth=1
	global_load_u16 v16, v[1:2], off offset:512
.LBB0_7:                                ;   in Loop: Header=BB0_3 Depth=1
	.loc	1 0 20                          ; row_sum.py:0:20
	s_wait_alu depctr_sa_sdst(0)
	s_or_b32 exec_lo, exec_lo, s2
	.loc	1 13 21 is_stmt 1               ; row_sum.py:13:21
	v_add_nc_u32_e32 v17, 0x200, v3
	.loc	1 14 20                         ; row_sum.py:14:20
	s_mov_b32 s2, exec_lo
	s_delay_alu instid0(VALU_DEP_1)
	.loc	1 14 46 is_stmt 0               ; row_sum.py:14:46
	v_cmpx_gt_i32_e64 s3, v17
	.loc	1 14 20                         ; row_sum.py:14:20
	s_cbranch_execz .LBB0_9
; %bb.8:                                ;   in Loop: Header=BB0_3 Depth=1
	global_load_u16 v15, v[1:2], off offset:1024
.LBB0_9:                                ;   in Loop: Header=BB0_3 Depth=1
	.loc	1 0 20                          ; row_sum.py:0:20
	s_wait_alu depctr_sa_sdst(0)
	s_or_b32 exec_lo, exec_lo, s2
	v_dual_mov_b32 v17, 0 :: v_dual_add_nc_u32 v18, 0x300, v3
	s_delay_alu instid0(VALU_DEP_1)
	.loc	1 14 46                         ; row_sum.py:14:46
	v_cmp_gt_i32_e32 vcc_lo, s3, v18
	v_mov_b32_e32 v18, 0
	.loc	1 14 20                         ; row_sum.py:14:20
	s_and_saveexec_b32 s2, vcc_lo
	s_cbranch_execz .LBB0_11
; %bb.10:                               ;   in Loop: Header=BB0_3 Depth=1
	global_load_u16 v18, v[1:2], off offset:1536
.LBB0_11:                               ;   in Loop: Header=BB0_3 Depth=1
	.loc	1 0 20                          ; row_sum.py:0:20
	s_wait_alu depctr_sa_sdst(0)
	s_or_b32 exec_lo, exec_lo, s2
	.loc	1 13 21 is_stmt 1               ; row_sum.py:13:21
	v_add_nc_u32_e32 v19, 0x400, v3
	.loc	1 14 20                         ; row_sum.py:14:20
	s_mov_b32 s2, exec_lo
	s_delay_alu instid0(VALU_DEP_1)
	.loc	1 14 46 is_stmt 0               ; row_sum.py:14:46
	v_cmpx_gt_i32_e64 s3, v19
	.loc	1 14 20                         ; row_sum.py:14:20
	s_cbranch_execz .LBB0_13
; %bb.12:                               ;   in Loop: Header=BB0_3 Depth=1
	global_load_u16 v17, v[1:2], off offset:2048
.LBB0_13:                               ;   in Loop: Header=BB0_3 Depth=1
	.loc	1 0 20                          ; row_sum.py:0:20
	s_wait_alu depctr_sa_sdst(0)
	s_or_b32 exec_lo, exec_lo, s2
	v_dual_mov_b32 v19, 0 :: v_dual_add_nc_u32 v20, 0x500, v3
	s_delay_alu instid0(VALU_DEP_1)
	.loc	1 14 46                         ; row_sum.py:14:46
	v_cmp_gt_i32_e32 vcc_lo, s3, v20
	v_mov_b32_e32 v20, 0
	.loc	1 14 20                         ; row_sum.py:14:20
	s_and_saveexec_b32 s2, vcc_lo
	s_cbranch_execz .LBB0_15
; %bb.14:                               ;   in Loop: Header=BB0_3 Depth=1
	global_load_u16 v20, v[1:2], off offset:2560
.LBB0_15:                               ;   in Loop: Header=BB0_3 Depth=1
	.loc	1 0 20                          ; row_sum.py:0:20
	s_wait_alu depctr_sa_sdst(0)
	s_or_b32 exec_lo, exec_lo, s2
	.loc	1 13 21 is_stmt 1               ; row_sum.py:13:21
	v_add_nc_u32_e32 v21, 0x600, v3
	.loc	1 14 20                         ; row_sum.py:14:20
	s_mov_b32 s2, exec_lo
	s_delay_alu instid0(VALU_DEP_1)
	.loc	1 14 46 is_stmt 0               ; row_sum.py:14:46
	v_cmpx_gt_i32_e64 s3, v21
	.loc	1 14 20                         ; row_sum.py:14:20
	s_cbranch_execz .LBB0_17
; %bb.16:                               ;   in Loop: Header=BB0_3 Depth=1
	global_load_u16 v19, v[1:2], off offset:3072
.LBB0_17:                               ;   in Loop: Header=BB0_3 Depth=1
	.loc	1 0 20                          ; row_sum.py:0:20
	s_wait_alu depctr_sa_sdst(0)
	s_or_b32 exec_lo, exec_lo, s2
	.loc	1 14 46                         ; row_sum.py:14:46
	v_add_nc_u32_e32 v3, 0x700, v3
	s_delay_alu instid0(VALU_DEP_1)
	v_cmp_gt_i32_e32 vcc_lo, s3, v3
	v_mov_b32_e32 v3, 0
	.loc	1 14 20                         ; row_sum.py:14:20
	s_and_saveexec_b32 s2, vcc_lo
	s_cbranch_execz .LBB0_2
; %bb.18:                               ;   in Loop: Header=BB0_3 Depth=1
	global_load_u16 v3, v[1:2], off offset:3584
	s_branch .LBB0_2
.LBB0_19:                               ; %._crit_edge.loopexit
.Ltmp1:
	.file	2 "/root/.local/lib/python3.13/site-packages/triton/language" "standard.py"
	.loc	2 263 15 is_stmt 1              ; standard.py:263:15 @[ standard.py:293:36 @[ row_sum.py:16:19 ] ]
	v_add_f32_e32 v1, v6, v7
	s_delay_alu instid0(VALU_DEP_1) | instskip(NEXT) | instid1(VALU_DEP_1)
	v_add_f32_e32 v1, v8, v1
	v_add_f32_e32 v1, v9, v1
	s_delay_alu instid0(VALU_DEP_1) | instskip(NEXT) | instid1(VALU_DEP_1)
	v_add_f32_e32 v1, v10, v1
	;; [unrolled: 3-line block ×3, first 2 shown]
	v_add_f32_e32 v1, v13, v1
	s_branch .LBB0_21
.LBB0_20:
	.loc	2 0 15 is_stmt 0                ; standard.py:0:15
	v_mov_b32_e32 v1, 0
.LBB0_21:                               ; %Flow
	s_delay_alu instid0(VALU_DEP_1) | instskip(SKIP_2) | instid1(VALU_DEP_1)
	.loc	2 263 15 is_stmt 1              ; standard.py:263:15 @[ standard.py:293:36 @[ row_sum.py:16:19 ] ]
	v_add_f32_dpp v1, v1, v1 row_shr:8 row_mask:0xf bank_mask:0xf bound_ctrl:1
	s_load_b64 s[2:3], s[0:1], 0x8
.Ltmp2:
	.loc	2 293 36                        ; standard.py:293:36 @[ row_sum.py:16:19 ]
	s_mov_b32 s0, exec_lo
.Ltmp3:
	.loc	2 263 15                        ; standard.py:263:15 @[ standard.py:293:36 @[ row_sum.py:16:19 ] ]
	v_add_f32_dpp v1, v1, v1 row_shr:4 row_mask:0xf bank_mask:0xf bound_ctrl:1
	s_delay_alu instid0(VALU_DEP_1) | instskip(NEXT) | instid1(VALU_DEP_1)
	v_add_f32_dpp v1, v1, v1 row_shr:2 row_mask:0xf bank_mask:0xf bound_ctrl:1
	v_add_f32_dpp v1, v1, v1 row_shr:1 row_mask:0xf bank_mask:0xf bound_ctrl:1
	s_delay_alu instid0(VALU_DEP_1) | instskip(NEXT) | instid1(VALU_DEP_1)
.Ltmp4:
	.loc	2 293 36                        ; standard.py:293:36 @[ row_sum.py:16:19 ]
	v_permlanex16_b32 v2, v1, -1, -1 op_sel:[1,0]
.Ltmp5:
	.loc	2 263 15                        ; standard.py:263:15 @[ standard.py:293:36 @[ row_sum.py:16:19 ] ]
	v_add_f32_e32 v1, v1, v2
	s_delay_alu instid0(VALU_DEP_1)
.Ltmp6:
	.loc	2 293 36                        ; standard.py:293:36 @[ row_sum.py:16:19 ]
	v_readlane_b32 s1, v1, 31
	v_cmpx_eq_u32_e32 0, v5
	s_cbranch_execz .LBB0_23
; %bb.22:
	.loc	2 0 36 is_stmt 0                ; standard.py:0:36
	s_and_b32 s4, s6, 7
	.loc	2 293 36                        ; standard.py:293:36 @[ row_sum.py:16:19 ]
	v_mov_b32_e32 v2, s1
	s_wait_alu depctr_sa_sdst(0)
	s_lshl2_add_u32 s4, s4, 0
	s_wait_alu depctr_sa_sdst(0)
	v_mov_b32_e32 v1, s4
	ds_store_b32 v1, v2
.LBB0_23:
	.loc	2 0 36                          ; standard.py:0:36
	s_or_b32 exec_lo, exec_lo, s0
	.loc	2 293 36                        ; standard.py:293:36 @[ row_sum.py:16:19 ]
	s_wait_dscnt 0x0
	s_barrier_signal -1
	v_cmp_gt_u32_e32 vcc_lo, 8, v0
	v_lshl_add_u32 v1, v0, 2, 0
	v_mov_b32_e32 v2, 0
	s_barrier_wait -1
	global_inv scope:SCOPE_SE
	s_and_saveexec_b32 s0, vcc_lo
; %bb.24:
	ds_load_b32 v2, v1
; %bb.25:
	.loc	2 0 36                          ; standard.py:0:36
	s_wait_alu depctr_sa_sdst(0)
	s_or_b32 exec_lo, exec_lo, s0
	.loc	2 293 36                        ; standard.py:293:36 @[ row_sum.py:16:19 ]
	s_wait_dscnt 0x0
	v_mov_b32_e32 v3, v2
	s_delay_alu instid0(VALU_DEP_1) | instskip(NEXT) | instid1(VALU_DEP_1)
	v_mov_b32_dpp v3, v3 row_shr:4 row_mask:0xf bank_mask:0xa
	v_mov_b32_dpp v3, v2 row_shl:4 row_mask:0xf bank_mask:0x5
	s_delay_alu instid0(VALU_DEP_1) | instskip(NEXT) | instid1(VALU_DEP_1)
.Ltmp7:
	.loc	2 263 15 is_stmt 1              ; standard.py:263:15 @[ standard.py:293:36 @[ row_sum.py:16:19 ] ]
	v_add_f32_e32 v2, v2, v3
.Ltmp8:
	.loc	2 293 36                        ; standard.py:293:36 @[ row_sum.py:16:19 ]
	v_mov_b32_e32 v3, v2
	s_delay_alu instid0(VALU_DEP_1) | instskip(NEXT) | instid1(VALU_DEP_1)
	v_mov_b32_dpp v3, v3 quad_perm:[2,3,0,1] row_mask:0xf bank_mask:0xf
.Ltmp9:
	.loc	2 263 15                        ; standard.py:263:15 @[ standard.py:293:36 @[ row_sum.py:16:19 ] ]
	v_dual_add_f32 v2, v2, v3 :: v_dual_and_b32 v3, 7, v0
	s_delay_alu instid0(VALU_DEP_1) | instskip(NEXT) | instid1(VALU_DEP_2)
.Ltmp10:
	.loc	2 293 36                        ; standard.py:293:36 @[ row_sum.py:16:19 ]
	v_mov_b32_e32 v0, v2
	v_cmp_eq_u32_e64 s0, 0, v3
	s_delay_alu instid0(VALU_DEP_2)
	v_mov_b32_dpp v0, v0 quad_perm:[1,0,3,2] row_mask:0xf bank_mask:0xf
	s_and_b32 s1, vcc_lo, s0
	s_wait_alu depctr_sa_sdst(0)
	s_and_saveexec_b32 s0, s1
; %bb.26:
	.loc	2 0 36 is_stmt 0                ; standard.py:0:36
	s_delay_alu instid0(VALU_DEP_1)
	v_add_f32_e32 v0, v2, v0
	.loc	2 293 36                        ; standard.py:293:36 @[ row_sum.py:16:19 ]
	ds_store_b32 v1, v0
; %bb.27:
	.loc	2 0 36                          ; standard.py:0:36
	s_wait_alu depctr_sa_sdst(0)
	s_or_b32 exec_lo, exec_lo, s0
	.loc	2 293 36                        ; standard.py:293:36 @[ row_sum.py:16:19 ]
	s_wait_loadcnt_dscnt 0x0
	s_barrier_signal -1
.Ltmp11:
	.loc	1 17 28 is_stmt 1               ; row_sum.py:17:28
	v_or_b32_e32 v0, s6, v5
	s_mov_b32 s0, exec_lo
.Ltmp12:
	.loc	2 293 36                        ; standard.py:293:36 @[ row_sum.py:16:19 ]
	s_barrier_wait -1
	global_inv scope:SCOPE_SE
.Ltmp13:
	.loc	1 17 28                         ; row_sum.py:17:28
	v_cmpx_eq_u32_e32 0, v0
	s_cbranch_execz .LBB0_29
; %bb.28:
	.loc	1 0 28 is_stmt 0                ; row_sum.py:0:28
	v_mov_b32_e32 v0, 0
	s_wait_alu depctr_sa_sdst(0)
	s_mov_b32 s0, ttmp9
	s_wait_alu depctr_sa_sdst(0)
	s_ashr_i32 s1, ttmp9, 31
	s_wait_alu depctr_sa_sdst(0)
	s_lshl_b64 s[0:1], s[0:1], 2
	.loc	1 17 28                         ; row_sum.py:17:28
	ds_load_b32 v1, v0
	s_wait_kmcnt 0x0
	s_wait_alu depctr_sa_sdst(0)
	s_add_nc_u64 s[0:1], s[2:3], s[0:1]
	s_wait_dscnt 0x0
	global_store_b32 v0, v1, s[0:1]
.LBB0_29:
	.loc	1 17 4                          ; row_sum.py:17:4
	s_endpgm
.Ltmp14:
	.section	.rodata,"a",@progbits
	.p2align	6, 0x0
	.amdhsa_kernel row_sum_kernel
		.amdhsa_group_segment_fixed_size 0
		.amdhsa_private_segment_fixed_size 0
		.amdhsa_kernarg_size 48
		.amdhsa_user_sgpr_count 2
		.amdhsa_user_sgpr_dispatch_ptr 0
		.amdhsa_user_sgpr_queue_ptr 0
		.amdhsa_user_sgpr_kernarg_segment_ptr 1
		.amdhsa_user_sgpr_dispatch_id 0
		.amdhsa_user_sgpr_private_segment_size 0
		.amdhsa_wavefront_size32 1
		.amdhsa_uses_dynamic_stack 0
		.amdhsa_enable_private_segment 0
		.amdhsa_system_sgpr_workgroup_id_x 1
		.amdhsa_system_sgpr_workgroup_id_y 1
		.amdhsa_system_sgpr_workgroup_id_z 1
		.amdhsa_system_sgpr_workgroup_info 0
		.amdhsa_system_vgpr_workitem_id 0
		.amdhsa_next_free_vgpr 22
		.amdhsa_next_free_sgpr 10
		.amdhsa_reserve_vcc 1
		.amdhsa_float_round_mode_32 0
		.amdhsa_float_round_mode_16_64 0
		.amdhsa_float_denorm_mode_32 3
		.amdhsa_float_denorm_mode_16_64 3
		.amdhsa_fp16_overflow 0
		.amdhsa_workgroup_processor_mode 1
		.amdhsa_memory_ordered 1
		.amdhsa_forward_progress 1
		.amdhsa_inst_pref_size 9
		.amdhsa_round_robin_scheduling 0
		.amdhsa_exception_fp_ieee_invalid_op 0
		.amdhsa_exception_fp_denorm_src 0
		.amdhsa_exception_fp_ieee_div_zero 0
		.amdhsa_exception_fp_ieee_overflow 0
		.amdhsa_exception_fp_ieee_underflow 0
		.amdhsa_exception_fp_ieee_inexact 0
		.amdhsa_exception_int_div_zero 0
	.end_amdhsa_kernel
	.text
.Lfunc_end0:
	.size	row_sum_kernel, .Lfunc_end0-row_sum_kernel
	.cfi_endproc
                                        ; -- End function
	.set row_sum_kernel.num_vgpr, 22
	.set row_sum_kernel.num_agpr, 0
	.set row_sum_kernel.numbered_sgpr, 10
	.set row_sum_kernel.num_named_barrier, 0
	.set row_sum_kernel.private_seg_size, 0
	.set row_sum_kernel.uses_vcc, 1
	.set row_sum_kernel.uses_flat_scratch, 0
	.set row_sum_kernel.has_dyn_sized_stack, 0
	.set row_sum_kernel.has_recursion, 0
	.set row_sum_kernel.has_indirect_call, 0
	.section	.AMDGPU.csdata,"",@progbits
; Kernel info:
; codeLenInByte = 1124
; TotalNumSgprs: 12
; NumVgprs: 22
; ScratchSize: 0
; MemoryBound: 0
; FloatMode: 240
; IeeeMode: 1
; LDSByteSize: 0 bytes/workgroup (compile time only)
; SGPRBlocks: 0
; VGPRBlocks: 2
; NumSGPRsForWavesPerEU: 12
; NumVGPRsForWavesPerEU: 22
; Occupancy: 16
; WaveLimiterHint : 0
; COMPUTE_PGM_RSRC2:SCRATCH_EN: 0
; COMPUTE_PGM_RSRC2:USER_SGPR: 2
; COMPUTE_PGM_RSRC2:TRAP_HANDLER: 0
; COMPUTE_PGM_RSRC2:TGID_X_EN: 1
; COMPUTE_PGM_RSRC2:TGID_Y_EN: 1
; COMPUTE_PGM_RSRC2:TGID_Z_EN: 1
; COMPUTE_PGM_RSRC2:TIDIG_COMP_CNT: 0
	.text
	.p2alignl 7, 3214868480
	.fill 96, 4, 3214868480
	.section	.AMDGPU.gpr_maximums,"",@progbits
	.set amdgpu.max_num_vgpr, 0
	.set amdgpu.max_num_agpr, 0
	.set amdgpu.max_num_sgpr, 0
	.set amdgpu.max_num_named_barrier, 0
	.text
	.section	.debug_abbrev,"",@progbits
	.byte	1                               ; Abbreviation Code
	.byte	17                              ; DW_TAG_compile_unit
	.byte	1                               ; DW_CHILDREN_yes
	.byte	37                              ; DW_AT_producer
	.byte	14                              ; DW_FORM_strp
	.byte	19                              ; DW_AT_language
	.byte	5                               ; DW_FORM_data2
	.byte	3                               ; DW_AT_name
	.byte	14                              ; DW_FORM_strp
	.byte	16                              ; DW_AT_stmt_list
	.byte	23                              ; DW_FORM_sec_offset
	.byte	27                              ; DW_AT_comp_dir
	.byte	14                              ; DW_FORM_strp
	.byte	17                              ; DW_AT_low_pc
	.byte	1                               ; DW_FORM_addr
	.byte	18                              ; DW_AT_high_pc
	.byte	6                               ; DW_FORM_data4
	.byte	0                               ; EOM(1)
	.byte	0                               ; EOM(2)
	.byte	2                               ; Abbreviation Code
	.byte	46                              ; DW_TAG_subprogram
	.byte	0                               ; DW_CHILDREN_no
	.byte	3                               ; DW_AT_name
	.byte	14                              ; DW_FORM_strp
	.byte	32                              ; DW_AT_inline
	.byte	11                              ; DW_FORM_data1
	.byte	0                               ; EOM(1)
	.byte	0                               ; EOM(2)
	.byte	3                               ; Abbreviation Code
	.byte	46                              ; DW_TAG_subprogram
	.byte	1                               ; DW_CHILDREN_yes
	.byte	17                              ; DW_AT_low_pc
	.byte	1                               ; DW_FORM_addr
	.byte	18                              ; DW_AT_high_pc
	.byte	6                               ; DW_FORM_data4
	.byte	49                              ; DW_AT_abstract_origin
	.byte	19                              ; DW_FORM_ref4
	.byte	0                               ; EOM(1)
	.byte	0                               ; EOM(2)
	.byte	4                               ; Abbreviation Code
	.byte	29                              ; DW_TAG_inlined_subroutine
	.byte	1                               ; DW_CHILDREN_yes
	.byte	49                              ; DW_AT_abstract_origin
	.byte	19                              ; DW_FORM_ref4
	.byte	85                              ; DW_AT_ranges
	.byte	23                              ; DW_FORM_sec_offset
	.byte	88                              ; DW_AT_call_file
	.byte	11                              ; DW_FORM_data1
	.byte	89                              ; DW_AT_call_line
	.byte	11                              ; DW_FORM_data1
	.byte	87                              ; DW_AT_call_column
	.byte	11                              ; DW_FORM_data1
	.byte	0                               ; EOM(1)
	.byte	0                               ; EOM(2)
	.byte	5                               ; Abbreviation Code
	.byte	29                              ; DW_TAG_inlined_subroutine
	.byte	0                               ; DW_CHILDREN_no
	.byte	49                              ; DW_AT_abstract_origin
	.byte	19                              ; DW_FORM_ref4
	.byte	85                              ; DW_AT_ranges
	.byte	23                              ; DW_FORM_sec_offset
	.byte	88                              ; DW_AT_call_file
	.byte	11                              ; DW_FORM_data1
	.byte	89                              ; DW_AT_call_line
	.byte	5                               ; DW_FORM_data2
	.byte	87                              ; DW_AT_call_column
	.byte	11                              ; DW_FORM_data1
	.byte	0                               ; EOM(1)
	.byte	0                               ; EOM(2)
	;; [unrolled: 1-line block ×3, first 2 shown]
	.section	.debug_info,"",@progbits
.Lcu_begin0:
	.long	.Ldebug_info_end0-.Ldebug_info_start0 ; Length of Unit
.Ldebug_info_start0:
	.short	4                               ; DWARF version number
	.long	.debug_abbrev                   ; Offset Into Abbrev. Section
	.byte	8                               ; Address Size (in bytes)
	.byte	1                               ; Abbrev [1] 0xb:0x52 DW_TAG_compile_unit
	.long	.Linfo_string0                  ; DW_AT_producer
	.short	2                               ; DW_AT_language
	.long	.Linfo_string1                  ; DW_AT_name
	.long	.Lline_table_start0             ; DW_AT_stmt_list
	.long	.Linfo_string2                  ; DW_AT_comp_dir
	.quad	.Lfunc_begin0                   ; DW_AT_low_pc
	.long	.Lfunc_end0-.Lfunc_begin0       ; DW_AT_high_pc
	.byte	2                               ; Abbrev [2] 0x2a:0x6 DW_TAG_subprogram
	.long	.Linfo_string3                  ; DW_AT_name
	.byte	1                               ; DW_AT_inline
	.byte	3                               ; Abbrev [3] 0x30:0x2c DW_TAG_subprogram
	.quad	.Lfunc_begin0                   ; DW_AT_low_pc
	.long	.Lfunc_end0-.Lfunc_begin0       ; DW_AT_high_pc
	.long	42                              ; DW_AT_abstract_origin
	.byte	4                               ; Abbrev [4] 0x41:0x1a DW_TAG_inlined_subroutine
	.long	42                              ; DW_AT_abstract_origin
	.long	.Ldebug_ranges0                 ; DW_AT_ranges
	.byte	1                               ; DW_AT_call_file
	.byte	16                              ; DW_AT_call_line
	.byte	19                              ; DW_AT_call_column
	.byte	5                               ; Abbrev [5] 0x4d:0xd DW_TAG_inlined_subroutine
	.long	42                              ; DW_AT_abstract_origin
	.long	.Ldebug_ranges1                 ; DW_AT_ranges
	.byte	2                               ; DW_AT_call_file
	.short	293                             ; DW_AT_call_line
	.byte	36                              ; DW_AT_call_column
	.byte	0                               ; End Of Children Mark
	.byte	0                               ; End Of Children Mark
	;; [unrolled: 1-line block ×3, first 2 shown]
.Ldebug_info_end0:
	.section	.debug_ranges,"",@progbits
.Ldebug_ranges0:
	.quad	.Ltmp1-.Lfunc_begin0
	.quad	.Ltmp11-.Lfunc_begin0
	;; [unrolled: 1-line block ×4, first 2 shown]
	.quad	0
	.quad	0
.Ldebug_ranges1:
	.quad	.Ltmp1-.Lfunc_begin0
	.quad	.Ltmp2-.Lfunc_begin0
	;; [unrolled: 1-line block ×10, first 2 shown]
	.quad	0
	.quad	0
	.section	.debug_str,"MS",@progbits,1
.Linfo_string0:
	.asciz	"triton"                        ; string offset=0
.Linfo_string1:
	.asciz	"row_sum.py"                    ; string offset=7
.Linfo_string2:
	.asciz	"/root/src/amdgpu-assembly/repos/triton-lang__triton-aot" ; string offset=18
.Linfo_string3:
	.asciz	"row_sum_kernel"                ; string offset=74
	.section	".note.GNU-stack","",@progbits
	.amdgpu_metadata
---
amdhsa.kernels:
  - .args:
      - .address_space:  global
        .offset:         0
        .size:           8
        .value_kind:     global_buffer
      - .address_space:  global
        .offset:         8
        .size:           8
        .value_kind:     global_buffer
      - .offset:         16
        .size:           4
        .value_kind:     by_value
      - .offset:         20
        .size:           4
        .value_kind:     by_value
      - .offset:         24
        .size:           4
        .value_kind:     by_value
      - .address_space:  global
        .offset:         32
        .size:           8
        .value_kind:     global_buffer
      - .address_space:  global
        .offset:         40
        .size:           8
        .value_kind:     global_buffer
    .group_segment_fixed_size: 0
    .kernarg_segment_align: 8
    .kernarg_segment_size: 48
    .max_flat_workgroup_size: 256
    .name:           row_sum_kernel
    .private_segment_fixed_size: 0
    .sgpr_count:     12
    .sgpr_spill_count: 0
    .symbol:         row_sum_kernel.kd
    .uniform_work_group_size: 1
    .uses_dynamic_stack: false
    .vgpr_count:     22
    .vgpr_spill_count: 0
    .wavefront_size: 32
    .workgroup_processor_mode: 1
amdhsa.target:   amdgcn-amd-amdhsa--gfx1201
amdhsa.version:
  - 1
  - 2
...

	.end_amdgpu_metadata
	.section	.debug_line,"",@progbits
.Lline_table_start0:
